;; amdgpu-corpus repo=ROCm/rocFFT kind=compiled arch=gfx1030 opt=O3
	.text
	.amdgcn_target "amdgcn-amd-amdhsa--gfx1030"
	.amdhsa_code_object_version 6
	.protected	fft_rtc_fwd_len270_factors_10_3_3_3_wgs_108_tpt_27_halfLds_dp_ip_CI_sbrr_dirReg ; -- Begin function fft_rtc_fwd_len270_factors_10_3_3_3_wgs_108_tpt_27_halfLds_dp_ip_CI_sbrr_dirReg
	.globl	fft_rtc_fwd_len270_factors_10_3_3_3_wgs_108_tpt_27_halfLds_dp_ip_CI_sbrr_dirReg
	.p2align	8
	.type	fft_rtc_fwd_len270_factors_10_3_3_3_wgs_108_tpt_27_halfLds_dp_ip_CI_sbrr_dirReg,@function
fft_rtc_fwd_len270_factors_10_3_3_3_wgs_108_tpt_27_halfLds_dp_ip_CI_sbrr_dirReg: ; @fft_rtc_fwd_len270_factors_10_3_3_3_wgs_108_tpt_27_halfLds_dp_ip_CI_sbrr_dirReg
; %bb.0:
	s_clause 0x2
	s_load_dwordx2 s[14:15], s[4:5], 0x18
	s_load_dwordx4 s[8:11], s[4:5], 0x0
	s_load_dwordx2 s[12:13], s[4:5], 0x50
	v_mul_u32_u24_e32 v1, 0x97c, v0
	v_mov_b32_e32 v3, 0
	v_lshrrev_b32_e32 v40, 16, v1
	v_mov_b32_e32 v1, 0
	v_mov_b32_e32 v6, v3
	v_mov_b32_e32 v2, 0
	v_lshl_add_u32 v5, s6, 2, v40
	s_waitcnt lgkmcnt(0)
	s_load_dwordx2 s[2:3], s[14:15], 0x0
	v_cmp_lt_u64_e64 s0, s[10:11], 2
	s_and_b32 vcc_lo, exec_lo, s0
	s_cbranch_vccnz .LBB0_8
; %bb.1:
	s_load_dwordx2 s[0:1], s[4:5], 0x10
	v_mov_b32_e32 v1, 0
	s_add_u32 s6, s14, 8
	v_mov_b32_e32 v2, 0
	s_addc_u32 s7, s15, 0
	s_mov_b64 s[18:19], 1
	s_waitcnt lgkmcnt(0)
	s_add_u32 s16, s0, 8
	s_addc_u32 s17, s1, 0
.LBB0_2:                                ; =>This Inner Loop Header: Depth=1
	s_load_dwordx2 s[20:21], s[16:17], 0x0
                                        ; implicit-def: $vgpr7_vgpr8
	s_mov_b32 s0, exec_lo
	s_waitcnt lgkmcnt(0)
	v_or_b32_e32 v4, s21, v6
	v_cmpx_ne_u64_e32 0, v[3:4]
	s_xor_b32 s1, exec_lo, s0
	s_cbranch_execz .LBB0_4
; %bb.3:                                ;   in Loop: Header=BB0_2 Depth=1
	v_cvt_f32_u32_e32 v4, s20
	v_cvt_f32_u32_e32 v7, s21
	s_sub_u32 s0, 0, s20
	s_subb_u32 s22, 0, s21
	v_fmac_f32_e32 v4, 0x4f800000, v7
	v_rcp_f32_e32 v4, v4
	v_mul_f32_e32 v4, 0x5f7ffffc, v4
	v_mul_f32_e32 v7, 0x2f800000, v4
	v_trunc_f32_e32 v7, v7
	v_fmac_f32_e32 v4, 0xcf800000, v7
	v_cvt_u32_f32_e32 v7, v7
	v_cvt_u32_f32_e32 v4, v4
	v_mul_lo_u32 v8, s0, v7
	v_mul_hi_u32 v9, s0, v4
	v_mul_lo_u32 v10, s22, v4
	v_add_nc_u32_e32 v8, v9, v8
	v_mul_lo_u32 v9, s0, v4
	v_add_nc_u32_e32 v8, v8, v10
	v_mul_hi_u32 v10, v4, v9
	v_mul_lo_u32 v11, v4, v8
	v_mul_hi_u32 v12, v4, v8
	v_mul_hi_u32 v13, v7, v9
	v_mul_lo_u32 v9, v7, v9
	v_mul_hi_u32 v14, v7, v8
	v_mul_lo_u32 v8, v7, v8
	v_add_co_u32 v10, vcc_lo, v10, v11
	v_add_co_ci_u32_e32 v11, vcc_lo, 0, v12, vcc_lo
	v_add_co_u32 v9, vcc_lo, v10, v9
	v_add_co_ci_u32_e32 v9, vcc_lo, v11, v13, vcc_lo
	v_add_co_ci_u32_e32 v10, vcc_lo, 0, v14, vcc_lo
	v_add_co_u32 v8, vcc_lo, v9, v8
	v_add_co_ci_u32_e32 v9, vcc_lo, 0, v10, vcc_lo
	v_add_co_u32 v4, vcc_lo, v4, v8
	v_add_co_ci_u32_e32 v7, vcc_lo, v7, v9, vcc_lo
	v_mul_hi_u32 v8, s0, v4
	v_mul_lo_u32 v10, s22, v4
	v_mul_lo_u32 v9, s0, v7
	v_add_nc_u32_e32 v8, v8, v9
	v_mul_lo_u32 v9, s0, v4
	v_add_nc_u32_e32 v8, v8, v10
	v_mul_hi_u32 v10, v4, v9
	v_mul_lo_u32 v11, v4, v8
	v_mul_hi_u32 v12, v4, v8
	v_mul_hi_u32 v13, v7, v9
	v_mul_lo_u32 v9, v7, v9
	v_mul_hi_u32 v14, v7, v8
	v_mul_lo_u32 v8, v7, v8
	v_add_co_u32 v10, vcc_lo, v10, v11
	v_add_co_ci_u32_e32 v11, vcc_lo, 0, v12, vcc_lo
	v_add_co_u32 v9, vcc_lo, v10, v9
	v_add_co_ci_u32_e32 v9, vcc_lo, v11, v13, vcc_lo
	v_add_co_ci_u32_e32 v10, vcc_lo, 0, v14, vcc_lo
	v_add_co_u32 v8, vcc_lo, v9, v8
	v_add_co_ci_u32_e32 v9, vcc_lo, 0, v10, vcc_lo
	v_add_co_u32 v4, vcc_lo, v4, v8
	v_add_co_ci_u32_e32 v11, vcc_lo, v7, v9, vcc_lo
	v_mul_hi_u32 v13, v5, v4
	v_mad_u64_u32 v[9:10], null, v6, v4, 0
	v_mad_u64_u32 v[7:8], null, v5, v11, 0
	;; [unrolled: 1-line block ×3, first 2 shown]
	v_add_co_u32 v4, vcc_lo, v13, v7
	v_add_co_ci_u32_e32 v7, vcc_lo, 0, v8, vcc_lo
	v_add_co_u32 v4, vcc_lo, v4, v9
	v_add_co_ci_u32_e32 v4, vcc_lo, v7, v10, vcc_lo
	v_add_co_ci_u32_e32 v7, vcc_lo, 0, v12, vcc_lo
	v_add_co_u32 v4, vcc_lo, v4, v11
	v_add_co_ci_u32_e32 v9, vcc_lo, 0, v7, vcc_lo
	v_mul_lo_u32 v10, s21, v4
	v_mad_u64_u32 v[7:8], null, s20, v4, 0
	v_mul_lo_u32 v11, s20, v9
	v_sub_co_u32 v7, vcc_lo, v5, v7
	v_add3_u32 v8, v8, v11, v10
	v_sub_nc_u32_e32 v10, v6, v8
	v_subrev_co_ci_u32_e64 v10, s0, s21, v10, vcc_lo
	v_add_co_u32 v11, s0, v4, 2
	v_add_co_ci_u32_e64 v12, s0, 0, v9, s0
	v_sub_co_u32 v13, s0, v7, s20
	v_sub_co_ci_u32_e32 v8, vcc_lo, v6, v8, vcc_lo
	v_subrev_co_ci_u32_e64 v10, s0, 0, v10, s0
	v_cmp_le_u32_e32 vcc_lo, s20, v13
	v_cmp_eq_u32_e64 s0, s21, v8
	v_cndmask_b32_e64 v13, 0, -1, vcc_lo
	v_cmp_le_u32_e32 vcc_lo, s21, v10
	v_cndmask_b32_e64 v14, 0, -1, vcc_lo
	v_cmp_le_u32_e32 vcc_lo, s20, v7
	;; [unrolled: 2-line block ×3, first 2 shown]
	v_cndmask_b32_e64 v15, 0, -1, vcc_lo
	v_cmp_eq_u32_e32 vcc_lo, s21, v10
	v_cndmask_b32_e64 v7, v15, v7, s0
	v_cndmask_b32_e32 v10, v14, v13, vcc_lo
	v_add_co_u32 v13, vcc_lo, v4, 1
	v_add_co_ci_u32_e32 v14, vcc_lo, 0, v9, vcc_lo
	v_cmp_ne_u32_e32 vcc_lo, 0, v10
	v_cndmask_b32_e32 v8, v14, v12, vcc_lo
	v_cndmask_b32_e32 v10, v13, v11, vcc_lo
	v_cmp_ne_u32_e32 vcc_lo, 0, v7
	v_cndmask_b32_e32 v8, v9, v8, vcc_lo
	v_cndmask_b32_e32 v7, v4, v10, vcc_lo
.LBB0_4:                                ;   in Loop: Header=BB0_2 Depth=1
	s_andn2_saveexec_b32 s0, s1
	s_cbranch_execz .LBB0_6
; %bb.5:                                ;   in Loop: Header=BB0_2 Depth=1
	v_cvt_f32_u32_e32 v4, s20
	s_sub_i32 s1, 0, s20
	v_rcp_iflag_f32_e32 v4, v4
	v_mul_f32_e32 v4, 0x4f7ffffe, v4
	v_cvt_u32_f32_e32 v4, v4
	v_mul_lo_u32 v7, s1, v4
	v_mul_hi_u32 v7, v4, v7
	v_add_nc_u32_e32 v4, v4, v7
	v_mul_hi_u32 v4, v5, v4
	v_mul_lo_u32 v7, v4, s20
	v_add_nc_u32_e32 v8, 1, v4
	v_sub_nc_u32_e32 v7, v5, v7
	v_subrev_nc_u32_e32 v9, s20, v7
	v_cmp_le_u32_e32 vcc_lo, s20, v7
	v_cndmask_b32_e32 v7, v7, v9, vcc_lo
	v_cndmask_b32_e32 v4, v4, v8, vcc_lo
	v_cmp_le_u32_e32 vcc_lo, s20, v7
	v_add_nc_u32_e32 v8, 1, v4
	v_cndmask_b32_e32 v7, v4, v8, vcc_lo
	v_mov_b32_e32 v8, v3
.LBB0_6:                                ;   in Loop: Header=BB0_2 Depth=1
	s_or_b32 exec_lo, exec_lo, s0
	s_load_dwordx2 s[0:1], s[6:7], 0x0
	v_mul_lo_u32 v4, v8, s20
	v_mul_lo_u32 v11, v7, s21
	v_mad_u64_u32 v[9:10], null, v7, s20, 0
	s_add_u32 s18, s18, 1
	s_addc_u32 s19, s19, 0
	s_add_u32 s6, s6, 8
	s_addc_u32 s7, s7, 0
	s_add_u32 s16, s16, 8
	s_addc_u32 s17, s17, 0
	v_add3_u32 v4, v10, v11, v4
	v_sub_co_u32 v5, vcc_lo, v5, v9
	v_sub_co_ci_u32_e32 v4, vcc_lo, v6, v4, vcc_lo
	s_waitcnt lgkmcnt(0)
	v_mul_lo_u32 v6, s1, v5
	v_mul_lo_u32 v4, s0, v4
	v_mad_u64_u32 v[1:2], null, s0, v5, v[1:2]
	v_cmp_ge_u64_e64 s0, s[18:19], s[10:11]
	s_and_b32 vcc_lo, exec_lo, s0
	v_add3_u32 v2, v6, v2, v4
	s_cbranch_vccnz .LBB0_9
; %bb.7:                                ;   in Loop: Header=BB0_2 Depth=1
	v_mov_b32_e32 v5, v7
	v_mov_b32_e32 v6, v8
	s_branch .LBB0_2
.LBB0_8:
	v_mov_b32_e32 v8, v6
	v_mov_b32_e32 v7, v5
.LBB0_9:
	s_lshl_b64 s[0:1], s[10:11], 3
	v_mul_hi_u32 v3, 0x97b425f, v0
	s_add_u32 s0, s14, s0
	s_addc_u32 s1, s15, s1
                                        ; implicit-def: $vgpr76
                                        ; implicit-def: $vgpr77
                                        ; implicit-def: $vgpr73
	s_load_dwordx2 s[0:1], s[0:1], 0x0
	s_load_dwordx2 s[4:5], s[4:5], 0x20
	v_mul_u32_u24_e32 v3, 27, v3
	v_sub_nc_u32_e32 v72, v0, v3
	v_add_nc_u32_e32 v75, 27, v72
	v_add_nc_u32_e32 v74, 54, v72
	s_waitcnt lgkmcnt(0)
	v_mul_lo_u32 v4, s0, v8
	v_mul_lo_u32 v5, s1, v7
	v_mad_u64_u32 v[1:2], null, s0, v7, v[1:2]
	v_cmp_gt_u64_e32 vcc_lo, s[4:5], v[7:8]
	v_cmp_le_u64_e64 s0, s[4:5], v[7:8]
	v_add3_u32 v2, v5, v2, v4
	s_and_saveexec_b32 s1, s0
	s_xor_b32 s0, exec_lo, s1
; %bb.10:
	v_add_nc_u32_e32 v76, 27, v72
	v_add_nc_u32_e32 v77, 54, v72
	;; [unrolled: 1-line block ×3, first 2 shown]
; %bb.11:
	s_or_saveexec_b32 s1, s0
	v_lshlrev_b64 v[60:61], 4, v[1:2]
                                        ; implicit-def: $vgpr22_vgpr23
                                        ; implicit-def: $vgpr18_vgpr19
                                        ; implicit-def: $vgpr26_vgpr27
                                        ; implicit-def: $vgpr30_vgpr31
                                        ; implicit-def: $vgpr34_vgpr35
                                        ; implicit-def: $vgpr38_vgpr39
                                        ; implicit-def: $vgpr14_vgpr15
                                        ; implicit-def: $vgpr10_vgpr11
                                        ; implicit-def: $vgpr6_vgpr7
                                        ; implicit-def: $vgpr2_vgpr3
	s_xor_b32 exec_lo, exec_lo, s1
	s_cbranch_execz .LBB0_13
; %bb.12:
	v_mad_u64_u32 v[0:1], null, s2, v72, 0
	v_mad_u64_u32 v[2:3], null, s2, v75, 0
	;; [unrolled: 1-line block ×3, first 2 shown]
	v_add_nc_u32_e32 v73, 0x51, v72
	v_add_nc_u32_e32 v13, 0x6c, v72
	v_add_co_u32 v31, s0, s12, v60
	v_mad_u64_u32 v[6:7], null, s3, v72, v[1:2]
	v_mad_u64_u32 v[7:8], null, s3, v75, v[3:4]
	;; [unrolled: 1-line block ×3, first 2 shown]
	v_mov_b32_e32 v3, v5
	v_mad_u64_u32 v[16:17], null, s2, v13, 0
	v_mov_b32_e32 v1, v6
	v_add_nc_u32_e32 v15, 0x87, v72
	v_mad_u64_u32 v[5:6], null, s3, v74, v[3:4]
	v_mov_b32_e32 v6, v9
	v_mov_b32_e32 v3, v7
	v_lshlrev_b64 v[0:1], 4, v[0:1]
	v_add_co_ci_u32_e64 v32, s0, s13, v61, s0
	v_mad_u64_u32 v[9:10], null, s3, v73, v[6:7]
	v_lshlrev_b64 v[2:3], 4, v[2:3]
	v_add_co_u32 v0, s0, v31, v0
	v_lshlrev_b64 v[10:11], 4, v[4:5]
	v_mad_u64_u32 v[18:19], null, s2, v15, 0
	v_add_co_ci_u32_e64 v1, s0, v32, v1, s0
	v_add_co_u32 v6, s0, v31, v2
	v_mov_b32_e32 v12, v17
	v_lshlrev_b64 v[8:9], 4, v[8:9]
	v_add_co_ci_u32_e64 v7, s0, v32, v3, s0
	v_add_co_u32 v10, s0, v31, v10
	v_add_co_ci_u32_e64 v11, s0, v32, v11, s0
	v_mad_u64_u32 v[12:13], null, s3, v13, v[12:13]
	v_add_nc_u32_e32 v25, 0xa2, v72
	v_add_co_u32 v13, s0, v31, v8
	v_mov_b32_e32 v8, v19
	v_add_nc_u32_e32 v27, 0xbd, v72
	v_mad_u64_u32 v[20:21], null, s2, v25, 0
	v_add_nc_u32_e32 v30, 0xd8, v72
	v_mad_u64_u32 v[22:23], null, s3, v15, v[8:9]
	v_mad_u64_u32 v[23:24], null, s2, v27, 0
	v_add_nc_u32_e32 v33, 0xf3, v72
	v_mov_b32_e32 v17, v12
	v_add_co_ci_u32_e64 v14, s0, v32, v9, s0
	v_mov_b32_e32 v19, v22
	v_mad_u64_u32 v[21:22], null, s3, v25, v[21:22]
	v_mov_b32_e32 v22, v24
	v_mad_u64_u32 v[25:26], null, s2, v30, 0
	v_lshlrev_b64 v[16:17], 4, v[16:17]
	v_lshlrev_b64 v[18:19], 4, v[18:19]
	v_mad_u64_u32 v[27:28], null, s3, v27, v[22:23]
	v_mad_u64_u32 v[28:29], null, s2, v33, 0
	v_mov_b32_e32 v22, v26
	v_add_co_u32 v16, s0, v31, v16
	v_lshlrev_b64 v[20:21], 4, v[20:21]
	v_mov_b32_e32 v24, v27
	v_mad_u64_u32 v[26:27], null, s3, v30, v[22:23]
	v_mov_b32_e32 v22, v29
	v_add_co_ci_u32_e64 v17, s0, v32, v17, s0
	v_add_co_u32 v18, s0, v31, v18
	v_mad_u64_u32 v[29:30], null, s3, v33, v[22:23]
	v_lshlrev_b64 v[22:23], 4, v[23:24]
	v_add_co_ci_u32_e64 v19, s0, v32, v19, s0
	v_add_co_u32 v20, s0, v31, v20
	v_lshlrev_b64 v[24:25], 4, v[25:26]
	v_add_co_ci_u32_e64 v21, s0, v32, v21, s0
	v_add_co_u32 v22, s0, v31, v22
	;; [unrolled: 3-line block ×3, first 2 shown]
	v_add_co_ci_u32_e64 v42, s0, v32, v25, s0
	v_add_co_u32 v43, s0, v31, v26
	s_clause 0x3
	global_load_dwordx4 v[0:3], v[0:1], off
	global_load_dwordx4 v[4:7], v[6:7], off
	;; [unrolled: 1-line block ×4, first 2 shown]
	v_add_co_ci_u32_e64 v44, s0, v32, v27, s0
	s_clause 0x5
	global_load_dwordx4 v[36:39], v[16:17], off
	global_load_dwordx4 v[32:35], v[18:19], off
	;; [unrolled: 1-line block ×6, first 2 shown]
	v_mov_b32_e32 v77, v74
	v_mov_b32_e32 v76, v75
.LBB0_13:
	s_or_b32 exec_lo, exec_lo, s1
	s_waitcnt vmcnt(2)
	v_add_f64 v[41:42], v[24:25], v[32:33]
	s_waitcnt vmcnt(0)
	v_add_f64 v[43:44], v[20:21], v[12:13]
	v_add_f64 v[45:46], v[14:15], -v[22:23]
	v_add_f64 v[47:48], v[26:27], v[34:35]
	v_add_f64 v[49:50], v[34:35], -v[26:27]
	v_add_f64 v[51:52], v[22:23], v[14:15]
	s_mov_b32 s14, 0x134454ff
	s_mov_b32 s15, 0x3fee6f0e
	;; [unrolled: 1-line block ×4, first 2 shown]
	v_add_f64 v[53:54], v[12:13], -v[32:33]
	v_add_f64 v[55:56], v[20:21], -v[24:25]
	;; [unrolled: 1-line block ×4, first 2 shown]
	v_add_f64 v[66:67], v[28:29], v[36:37]
	v_add_f64 v[70:71], v[12:13], -v[20:21]
	v_add_f64 v[68:69], v[16:17], v[8:9]
	v_add_f64 v[78:79], v[32:33], -v[24:25]
	s_mov_b32 s10, 0x4755a5e
	s_mov_b32 s11, 0x3fe2cf23
	;; [unrolled: 1-line block ×4, first 2 shown]
	v_fma_f64 v[41:42], v[41:42], -0.5, v[4:5]
	v_fma_f64 v[43:44], v[43:44], -0.5, v[4:5]
	v_add_f64 v[64:65], v[14:15], -v[34:35]
	v_fma_f64 v[47:48], v[47:48], -0.5, v[6:7]
	v_add_f64 v[84:85], v[22:23], -v[26:27]
	;; [unrolled: 2-line block ×3, first 2 shown]
	v_add_f64 v[88:89], v[26:27], -v[22:23]
	v_add_f64 v[90:91], v[10:11], -v[18:19]
	v_add_f64 v[94:95], v[8:9], v[0:1]
	v_add_f64 v[4:5], v[12:13], v[4:5]
	;; [unrolled: 1-line block ×3, first 2 shown]
	v_add_f64 v[92:93], v[38:39], -v[30:31]
	v_add_f64 v[55:56], v[62:63], v[57:58]
	v_fma_f64 v[12:13], v[66:67], -0.5, v[0:1]
	s_mov_b32 s16, 0x372fe950
	v_fma_f64 v[0:1], v[68:69], -0.5, v[0:1]
	s_mov_b32 s17, 0x3fd3c6ef
	s_mov_b32 s18, 0x9b97f4a8
	;; [unrolled: 1-line block ×3, first 2 shown]
	v_cmp_gt_u32_e64 s0, 9, v72
	v_fma_f64 v[80:81], v[45:46], s[14:15], v[41:42]
	v_fma_f64 v[82:83], v[49:50], s[4:5], v[43:44]
	;; [unrolled: 1-line block ×8, first 2 shown]
	v_add_f64 v[84:85], v[84:85], v[64:65]
	v_add_f64 v[86:87], v[88:89], v[86:87]
	;; [unrolled: 1-line block ×4, first 2 shown]
	v_fma_f64 v[94:95], v[90:91], s[14:15], v[12:13]
	v_fma_f64 v[12:13], v[90:91], s[4:5], v[12:13]
	;; [unrolled: 1-line block ×8, first 2 shown]
	v_add_f64 v[45:46], v[8:9], -v[36:37]
	v_add_f64 v[49:50], v[16:17], -v[28:29]
	v_fma_f64 v[57:58], v[78:79], s[6:7], v[57:58]
	v_fma_f64 v[47:48], v[78:79], s[10:11], v[47:48]
	v_add_f64 v[80:81], v[36:37], -v[8:9]
	v_add_f64 v[82:83], v[28:29], -v[16:17]
	v_fma_f64 v[78:79], v[70:71], s[6:7], v[66:67]
	v_fma_f64 v[51:52], v[70:71], s[10:11], v[51:52]
	v_add_f64 v[24:25], v[24:25], v[32:33]
	v_fma_f64 v[32:33], v[92:93], s[10:11], v[94:95]
	v_fma_f64 v[64:65], v[53:54], s[16:17], v[62:63]
	;; [unrolled: 1-line block ×6, first 2 shown]
	v_add_f64 v[41:42], v[49:50], v[45:46]
	v_add_f64 v[45:46], v[28:29], v[88:89]
	v_fma_f64 v[49:50], v[92:93], s[6:7], v[12:13]
	v_fma_f64 v[12:13], v[84:85], s[16:17], v[57:58]
	;; [unrolled: 1-line block ×3, first 2 shown]
	v_add_f64 v[43:44], v[82:83], v[80:81]
	v_fma_f64 v[55:56], v[90:91], s[6:7], v[98:99]
	v_fma_f64 v[68:69], v[86:87], s[16:17], v[78:79]
	;; [unrolled: 1-line block ×3, first 2 shown]
	v_add_f64 v[20:21], v[20:21], v[24:25]
	v_and_b32_e32 v86, 3, v40
	v_mul_f64 v[47:48], v[64:65], s[18:19]
	v_mul_f64 v[57:58], v[62:63], s[16:17]
	;; [unrolled: 1-line block ×4, first 2 shown]
	v_fma_f64 v[24:25], v[41:42], s[16:17], v[32:33]
	v_add_f64 v[80:81], v[16:17], v[45:46]
	v_fma_f64 v[32:33], v[41:42], s[16:17], v[49:50]
	v_fma_f64 v[82:83], v[43:44], s[16:17], v[55:56]
	;; [unrolled: 1-line block ×5, first 2 shown]
	v_fma_f64 v[84:85], v[70:71], s[14:15], -v[51:52]
	v_fma_f64 v[78:79], v[66:67], s[10:11], -v[78:79]
	v_add_f64 v[44:45], v[20:21], v[80:81]
	v_add_f64 v[50:51], v[80:81], -v[20:21]
	v_mul_u32_u24_e32 v20, 10, v72
	v_add_f64 v[46:47], v[24:25], v[41:42]
	v_add_f64 v[52:53], v[24:25], -v[41:42]
	v_add_f64 v[54:55], v[48:49], -v[57:58]
	v_add_f64 v[56:57], v[48:49], v[57:58]
	v_add_f64 v[58:59], v[82:83], v[84:85]
	;; [unrolled: 1-line block ×3, first 2 shown]
	v_add_f64 v[40:41], v[82:83], -v[84:85]
	v_add_f64 v[42:43], v[32:33], -v[78:79]
	v_mul_u32_u24_e32 v82, 0x10e, v86
	v_lshlrev_b32_e32 v83, 3, v73
	v_lshl_add_u32 v21, v82, 3, 0
	v_lshlrev_b32_e32 v82, 3, v82
	v_lshl_add_u32 v84, v20, 3, v21
	v_lshl_add_u32 v79, v72, 3, v21
	;; [unrolled: 1-line block ×4, first 2 shown]
	ds_write_b128 v84, v[44:47]
	ds_write_b128 v84, v[56:59] offset:16
	ds_write_b128 v84, v[48:51] offset:32
	;; [unrolled: 1-line block ×4, first 2 shown]
	v_mad_i32_i24 v78, 0xffffffb8, v72, v84
	s_waitcnt lgkmcnt(0)
	s_barrier
	buffer_gl0_inv
	ds_read_b64 v[32:33], v79
	ds_read_b64 v[24:25], v80
	ds_read_b64 v[20:21], v81
	ds_read2_b64 v[52:55], v78 offset0:90 offset1:117
	ds_read2_b64 v[44:47], v78 offset0:144 offset1:180
	;; [unrolled: 1-line block ×3, first 2 shown]
                                        ; implicit-def: $vgpr58_vgpr59
	s_and_saveexec_b32 s1, s0
	s_cbranch_execz .LBB0_15
; %bb.14:
	v_add3_u32 v40, 0, v83, v82
	v_add_nc_u32_e32 v41, 0x400, v78
	ds_read_b64 v[42:43], v40
	ds_read2_b64 v[56:59], v41 offset0:43 offset1:133
.LBB0_15:
	s_or_b32 exec_lo, exec_lo, s1
	v_add_f64 v[40:41], v[30:31], v[38:39]
	v_add_f64 v[85:86], v[18:19], v[10:11]
	;; [unrolled: 1-line block ×3, first 2 shown]
	v_add_f64 v[8:9], v[8:9], -v[16:17]
	v_add_f64 v[6:7], v[14:15], v[6:7]
	v_add_f64 v[14:15], v[36:37], -v[28:29]
	v_add_f64 v[28:29], v[10:11], -v[38:39]
	v_add_f64 v[36:37], v[18:19], -v[30:31]
	v_add_f64 v[10:11], v[38:39], -v[10:11]
	v_mul_f64 v[64:65], v[64:65], s[6:7]
	v_mul_f64 v[66:67], v[66:67], s[18:19]
	;; [unrolled: 1-line block ×4, first 2 shown]
	s_waitcnt lgkmcnt(0)
	s_barrier
	buffer_gl0_inv
	v_fma_f64 v[16:17], v[40:41], -0.5, v[2:3]
	v_fma_f64 v[2:3], v[85:86], -0.5, v[2:3]
	v_add_f64 v[38:39], v[38:39], v[87:88]
	v_add_f64 v[6:7], v[34:35], v[6:7]
	v_add_f64 v[34:35], v[30:31], -v[18:19]
	v_add_f64 v[28:29], v[36:37], v[28:29]
	v_fma_f64 v[36:37], v[68:69], s[16:17], v[62:63]
	v_fma_f64 v[40:41], v[8:9], s[4:5], v[16:17]
	;; [unrolled: 1-line block ×5, first 2 shown]
	v_add_f64 v[30:31], v[30:31], v[38:39]
	v_add_f64 v[6:7], v[26:27], v[6:7]
	;; [unrolled: 1-line block ×3, first 2 shown]
	v_fma_f64 v[38:39], v[4:5], s[4:5], -v[70:71]
	v_fma_f64 v[26:27], v[14:15], s[6:7], v[40:41]
	v_fma_f64 v[34:35], v[8:9], s[6:7], v[85:86]
	;; [unrolled: 1-line block ×5, first 2 shown]
	v_add_f64 v[12:13], v[18:19], v[30:31]
	v_add_f64 v[6:7], v[22:23], v[6:7]
	v_fma_f64 v[22:23], v[0:1], s[6:7], -v[66:67]
	v_fma_f64 v[0:1], v[28:29], s[16:17], v[26:27]
	v_fma_f64 v[18:19], v[10:11], s[16:17], v[34:35]
	;; [unrolled: 1-line block ×4, first 2 shown]
	v_add_f64 v[4:5], v[6:7], v[12:13]
	v_add_f64 v[10:11], v[12:13], -v[6:7]
	v_add_f64 v[6:7], v[0:1], v[16:17]
	v_add_f64 v[12:13], v[18:19], v[36:37]
	v_add_f64 v[14:15], v[2:3], v[38:39]
	v_add_f64 v[8:9], v[26:27], v[22:23]
	v_add_f64 v[16:17], v[0:1], -v[16:17]
	v_add_f64 v[18:19], v[18:19], -v[36:37]
	v_add_f64 v[0:1], v[2:3], -v[38:39]
	v_add_f64 v[2:3], v[26:27], -v[22:23]
	ds_write_b128 v84, v[4:7]
	ds_write_b128 v84, v[12:15] offset:16
	ds_write_b128 v84, v[8:11] offset:32
	;; [unrolled: 1-line block ×4, first 2 shown]
	s_waitcnt lgkmcnt(0)
	s_barrier
	buffer_gl0_inv
	ds_read2_b64 v[16:19], v78 offset0:90 offset1:117
	ds_read2_b64 v[12:15], v78 offset0:144 offset1:180
	;; [unrolled: 1-line block ×3, first 2 shown]
	ds_read_b64 v[26:27], v79
	ds_read_b64 v[22:23], v80
	;; [unrolled: 1-line block ×3, first 2 shown]
                                        ; implicit-def: $vgpr6_vgpr7
	s_and_saveexec_b32 s1, s0
	s_cbranch_execz .LBB0_17
; %bb.16:
	v_add3_u32 v2, 0, v83, v82
	v_add_nc_u32_e32 v4, 0x400, v78
	ds_read_b64 v[2:3], v2
	ds_read2_b64 v[4:7], v4 offset0:43 offset1:133
.LBB0_17:
	s_or_b32 exec_lo, exec_lo, s1
	v_and_b32_e32 v28, 0xff, v72
	v_and_b32_e32 v29, 0xff, v76
	;; [unrolled: 1-line block ×4, first 2 shown]
	s_mov_b32 s4, 0xe8584caa
	v_mul_lo_u16 v28, 0xcd, v28
	v_mul_lo_u16 v29, 0xcd, v29
	;; [unrolled: 1-line block ×4, first 2 shown]
	s_mov_b32 s5, 0x3febb67a
	v_lshrrev_b16 v117, 11, v28
	v_lshrrev_b16 v118, 11, v29
	;; [unrolled: 1-line block ×4, first 2 shown]
	v_mov_b32_e32 v30, 5
	v_mul_lo_u16 v29, v117, 10
	v_mul_lo_u16 v31, v118, 10
	;; [unrolled: 1-line block ×4, first 2 shown]
	s_mov_b32 s7, 0xbfebb67a
	v_sub_nc_u16 v120, v72, v29
	v_sub_nc_u16 v121, v76, v31
	;; [unrolled: 1-line block ×4, first 2 shown]
	s_mov_b32 s6, s4
	v_lshlrev_b32_sdwa v34, v30, v120 dst_sel:DWORD dst_unused:UNUSED_PAD src0_sel:DWORD src1_sel:BYTE_0
	v_lshlrev_b32_sdwa v35, v30, v121 dst_sel:DWORD dst_unused:UNUSED_PAD src0_sel:DWORD src1_sel:BYTE_0
	;; [unrolled: 1-line block ×4, first 2 shown]
	s_clause 0x7
	global_load_dwordx4 v[28:31], v34, s[8:9]
	global_load_dwordx4 v[36:39], v34, s[8:9] offset:16
	global_load_dwordx4 v[66:69], v35, s[8:9]
	global_load_dwordx4 v[87:90], v35, s[8:9] offset:16
	;; [unrolled: 2-line block ×4, first 2 shown]
	s_waitcnt vmcnt(0) lgkmcnt(0)
	s_barrier
	buffer_gl0_inv
	v_mul_f64 v[34:35], v[16:17], v[30:31]
	v_mul_f64 v[40:41], v[14:15], v[38:39]
	;; [unrolled: 1-line block ×16, first 2 shown]
	v_fma_f64 v[62:63], v[52:53], v[28:29], -v[34:35]
	v_fma_f64 v[64:65], v[46:47], v[36:37], -v[40:41]
	;; [unrolled: 1-line block ×8, first 2 shown]
	v_fma_f64 v[56:57], v[16:17], v[28:29], v[30:31]
	v_fma_f64 v[58:59], v[18:19], v[66:67], v[68:69]
	;; [unrolled: 1-line block ×8, first 2 shown]
	v_and_b32_e32 v87, 0xffff, v117
	v_and_b32_e32 v88, 0xffff, v118
	v_add_f64 v[12:13], v[32:33], v[62:63]
	v_add_f64 v[8:9], v[62:63], v[64:65]
	;; [unrolled: 1-line block ×8, first 2 shown]
	v_add_f64 v[14:15], v[56:57], -v[28:29]
	v_add_f64 v[38:39], v[58:59], -v[30:31]
	v_add_f64 v[12:13], v[12:13], v[64:65]
	v_fma_f64 v[8:9], v[8:9], -0.5, v[32:33]
	v_add_f64 v[16:17], v[16:17], v[52:53]
	v_fma_f64 v[10:11], v[10:11], -0.5, v[24:25]
	v_add_f64 v[24:25], v[66:67], -v[54:55]
	v_fma_f64 v[4:5], v[4:5], -0.5, v[20:21]
	v_add_f64 v[20:21], v[70:71], -v[68:69]
	v_fma_f64 v[6:7], v[6:7], -0.5, v[42:43]
	v_add_f64 v[32:33], v[36:37], v[48:49]
	v_add_f64 v[18:19], v[18:19], v[50:51]
	v_fma_f64 v[36:37], v[14:15], s[4:5], v[8:9]
	v_fma_f64 v[14:15], v[14:15], s[6:7], v[8:9]
	;; [unrolled: 1-line block ×8, first 2 shown]
	v_mov_b32_e32 v8, 3
	v_and_b32_e32 v11, 0xffff, v119
	v_mad_u32_u24 v20, 0xf0, v87, 0
	v_mad_u32_u24 v21, 0xf0, v88, 0
	v_lshlrev_b32_sdwa v24, v8, v120 dst_sel:DWORD dst_unused:UNUSED_PAD src0_sel:DWORD src1_sel:BYTE_0
	v_mad_u32_u24 v11, 0xf0, v11, 0
	v_lshlrev_b32_sdwa v25, v8, v121 dst_sel:DWORD dst_unused:UNUSED_PAD src0_sel:DWORD src1_sel:BYTE_0
	v_lshlrev_b32_sdwa v87, v8, v122 dst_sel:DWORD dst_unused:UNUSED_PAD src0_sel:DWORD src1_sel:BYTE_0
	v_add3_u32 v20, v20, v24, v82
	v_add3_u32 v21, v21, v25, v82
	;; [unrolled: 1-line block ×3, first 2 shown]
	ds_write2_b64 v20, v[12:13], v[36:37] offset1:10
	ds_write_b64 v20, v[14:15] offset:160
	ds_write2_b64 v21, v[16:17], v[40:41] offset1:10
	ds_write_b64 v21, v[9:10] offset:160
	ds_write2_b64 v24, v[18:19], v[38:39] offset1:10
	ds_write_b64 v24, v[42:43] offset:160
	s_and_saveexec_b32 s1, s0
	s_cbranch_execz .LBB0_19
; %bb.18:
	v_lshlrev_b32_sdwa v8, v8, v86 dst_sel:DWORD dst_unused:UNUSED_PAD src0_sel:DWORD src1_sel:BYTE_0
	v_add3_u32 v8, 0, v8, v82
	ds_write2_b64 v8, v[32:33], v[4:5] offset0:240 offset1:250
	ds_write_b64 v8, v[6:7] offset:2080
.LBB0_19:
	s_or_b32 exec_lo, exec_lo, s1
	s_waitcnt lgkmcnt(0)
	s_barrier
	buffer_gl0_inv
	ds_read2_b64 v[8:11], v78 offset0:90 offset1:117
	ds_read2_b64 v[16:19], v78 offset0:144 offset1:180
	;; [unrolled: 1-line block ×3, first 2 shown]
	ds_read_b64 v[38:39], v79
	ds_read_b64 v[36:37], v80
	;; [unrolled: 1-line block ×3, first 2 shown]
	s_and_saveexec_b32 s1, s0
	s_cbranch_execz .LBB0_21
; %bb.20:
	v_add3_u32 v4, 0, v83, v82
	v_add_nc_u32_e32 v5, 0x400, v78
	ds_read_b64 v[32:33], v4
	ds_read2_b64 v[4:7], v5 offset0:43 offset1:133
.LBB0_21:
	s_or_b32 exec_lo, exec_lo, s1
	v_add_f64 v[42:43], v[56:57], v[28:29]
	v_add_f64 v[87:88], v[58:59], v[30:31]
	;; [unrolled: 1-line block ×5, first 2 shown]
	v_add_f64 v[62:63], v[62:63], -v[64:65]
	v_add_f64 v[58:59], v[22:23], v[58:59]
	v_add_f64 v[64:65], v[0:1], v[66:67]
	;; [unrolled: 1-line block ×3, first 2 shown]
	v_add_f64 v[44:45], v[44:45], -v[50:51]
	s_mov_b32 s4, 0xe8584caa
	s_mov_b32 s5, 0xbfebb67a
	;; [unrolled: 1-line block ×4, first 2 shown]
	s_waitcnt lgkmcnt(0)
	s_barrier
	buffer_gl0_inv
	v_fma_f64 v[25:26], v[42:43], -0.5, v[26:27]
	v_add_f64 v[42:43], v[46:47], -v[52:53]
	v_fma_f64 v[22:23], v[87:88], -0.5, v[22:23]
	v_fma_f64 v[0:1], v[89:90], -0.5, v[0:1]
	v_add_f64 v[46:47], v[34:35], -v[48:49]
	v_fma_f64 v[2:3], v[91:92], -0.5, v[2:3]
	v_add_f64 v[27:28], v[56:57], v[28:29]
	v_add_f64 v[29:30], v[58:59], v[30:31]
	;; [unrolled: 1-line block ×4, first 2 shown]
	v_fma_f64 v[50:51], v[62:63], s[4:5], v[25:26]
	v_fma_f64 v[25:26], v[62:63], s[6:7], v[25:26]
	;; [unrolled: 1-line block ×8, first 2 shown]
	ds_write2_b64 v20, v[27:28], v[50:51] offset1:10
	ds_write_b64 v20, v[25:26] offset:160
	ds_write2_b64 v21, v[29:30], v[52:53] offset1:10
	ds_write_b64 v21, v[22:23] offset:160
	;; [unrolled: 2-line block ×3, first 2 shown]
	s_and_saveexec_b32 s1, s0
	s_cbranch_execz .LBB0_23
; %bb.22:
	v_mov_b32_e32 v20, 3
	v_lshlrev_b32_sdwa v20, v20, v86 dst_sel:DWORD dst_unused:UNUSED_PAD src0_sel:DWORD src1_sel:BYTE_0
	v_add3_u32 v20, 0, v20, v82
	ds_write2_b64 v20, v[34:35], v[0:1] offset0:240 offset1:250
	ds_write_b64 v20, v[2:3] offset:2080
.LBB0_23:
	s_or_b32 exec_lo, exec_lo, s1
	s_waitcnt lgkmcnt(0)
	s_barrier
	buffer_gl0_inv
	ds_read2_b64 v[24:27], v78 offset0:90 offset1:117
	ds_read2_b64 v[28:31], v78 offset0:144 offset1:180
	;; [unrolled: 1-line block ×3, first 2 shown]
	ds_read_b64 v[48:49], v79
	ds_read_b64 v[46:47], v80
	;; [unrolled: 1-line block ×3, first 2 shown]
	s_and_saveexec_b32 s1, s0
	s_cbranch_execz .LBB0_25
; %bb.24:
	v_add3_u32 v0, 0, v83, v82
	v_add_nc_u32_e32 v1, 0x400, v78
	ds_read_b64 v[34:35], v0
	ds_read2_b64 v[0:3], v1 offset0:43 offset1:133
.LBB0_25:
	s_or_b32 exec_lo, exec_lo, s1
	v_mul_lo_u16 v50, 0x89, v85
	v_add_nc_u32_e32 v51, -3, v72
	v_cmp_gt_u32_e64 s1, 3, v72
	v_lshlrev_b32_e32 v42, 1, v72
	v_mov_b32_e32 v43, 0
	v_mul_lo_u16 v52, 0x89, v84
	v_lshrrev_b16 v71, 12, v50
	v_cndmask_b32_e64 v118, v51, v76, s1
	v_mov_b32_e32 v54, 5
	v_lshlrev_b64 v[50:51], 4, v[42:43]
	v_lshrrev_b16 v52, 12, v52
	v_mul_lo_u16 v53, v71, 30
	v_lshlrev_b32_e32 v42, 1, v118
	s_mov_b32 s4, 0xe8584caa
	s_mov_b32 s5, 0x3febb67a
	v_mul_lo_u16 v55, v52, 30
	v_sub_nc_u16 v119, v77, v53
	v_lshlrev_b64 v[52:53], 4, v[42:43]
	v_add_co_u32 v42, s1, s8, v50
	v_add_co_ci_u32_e64 v43, s1, s9, v51, s1
	v_sub_nc_u16 v70, v73, v55
	v_lshlrev_b32_sdwa v56, v54, v119 dst_sel:DWORD dst_unused:UNUSED_PAD src0_sel:DWORD src1_sel:BYTE_0
	v_add_co_u32 v50, s1, s8, v52
	v_add_co_ci_u32_e64 v51, s1, s9, v53, s1
	v_lshlrev_b32_sdwa v52, v54, v70 dst_sel:DWORD dst_unused:UNUSED_PAD src0_sel:DWORD src1_sel:BYTE_0
	s_clause 0x7
	global_load_dwordx4 v[84:87], v[42:43], off offset:336
	global_load_dwordx4 v[88:91], v[42:43], off offset:320
	global_load_dwordx4 v[92:95], v56, s[8:9] offset:320
	global_load_dwordx4 v[96:99], v56, s[8:9] offset:336
	global_load_dwordx4 v[100:103], v[50:51], off offset:320
	global_load_dwordx4 v[104:107], v[50:51], off offset:336
	global_load_dwordx4 v[108:111], v52, s[8:9] offset:320
	global_load_dwordx4 v[112:115], v52, s[8:9] offset:336
	s_mov_b32 s7, 0xbfebb67a
	s_mov_b32 s6, s4
	v_cmp_lt_u32_e64 s1, 2, v72
	s_waitcnt vmcnt(0) lgkmcnt(0)
	s_barrier
	buffer_gl0_inv
	v_mul_f64 v[54:55], v[28:29], v[94:95]
	v_mul_f64 v[56:57], v[22:23], v[98:99]
	;; [unrolled: 1-line block ×15, first 2 shown]
	v_fma_f64 v[58:59], v[10:11], v[100:101], -v[58:59]
	v_fma_f64 v[62:63], v[18:19], v[84:85], -v[50:51]
	;; [unrolled: 1-line block ×6, first 2 shown]
	v_mul_f64 v[8:9], v[6:7], v[114:115]
	v_fma_f64 v[54:55], v[4:5], v[108:109], -v[68:69]
	v_fma_f64 v[56:57], v[6:7], v[112:113], -v[116:117]
	v_fma_f64 v[68:69], v[24:25], v[88:89], v[90:91]
	v_fma_f64 v[4:5], v[30:31], v[84:85], v[86:87]
	;; [unrolled: 1-line block ×7, first 2 shown]
	v_cndmask_b32_e64 v94, 0, 0x2d0, s1
	v_add_f64 v[84:85], v[36:37], v[58:59]
	v_add_f64 v[10:11], v[66:67], v[62:63]
	v_add_f64 v[16:17], v[40:41], v[50:51]
	v_add_f64 v[12:13], v[50:51], v[52:53]
	v_add_f64 v[14:15], v[58:59], v[64:65]
	v_fma_f64 v[26:27], v[2:3], v[112:113], v[8:9]
	v_add_f64 v[2:3], v[38:39], v[66:67]
	v_add_f64 v[0:1], v[54:55], v[56:57]
	;; [unrolled: 1-line block ×3, first 2 shown]
	v_add_f64 v[8:9], v[68:69], -v[4:5]
	v_add_f64 v[18:19], v[24:25], -v[6:7]
	v_add_f64 v[84:85], v[84:85], v[64:65]
	v_fma_f64 v[10:11], v[10:11], -0.5, v[38:39]
	v_add_f64 v[38:39], v[22:23], -v[20:21]
	v_fma_f64 v[12:13], v[12:13], -0.5, v[40:41]
	v_fma_f64 v[14:15], v[14:15], -0.5, v[36:37]
	v_add_f64 v[36:37], v[28:29], -v[26:27]
	v_add_f64 v[86:87], v[2:3], v[62:63]
	v_fma_f64 v[40:41], v[0:1], -0.5, v[32:33]
	v_add_f64 v[32:33], v[30:31], v[56:57]
	v_add_f64 v[16:17], v[16:17], v[52:53]
	v_fma_f64 v[88:89], v[8:9], s[4:5], v[10:11]
	v_fma_f64 v[9:10], v[8:9], s[6:7], v[10:11]
	v_fma_f64 v[90:91], v[18:19], s[4:5], v[12:13]
	v_fma_f64 v[92:93], v[38:39], s[4:5], v[14:15]
	v_fma_f64 v[14:15], v[38:39], s[6:7], v[14:15]
	v_fma_f64 v[11:12], v[18:19], s[6:7], v[12:13]
	v_fma_f64 v[0:1], v[36:37], s[4:5], v[40:41]
	v_fma_f64 v[2:3], v[36:37], s[6:7], v[40:41]
	v_and_b32_e32 v13, 0xffff, v71
	v_mov_b32_e32 v8, 3
	v_add_nc_u32_e32 v18, 0, v94
	v_lshlrev_b32_e32 v19, 3, v118
	v_mad_u32_u24 v13, 0x2d0, v13, 0
	v_lshlrev_b32_sdwa v30, v8, v119 dst_sel:DWORD dst_unused:UNUSED_PAD src0_sel:DWORD src1_sel:BYTE_0
	v_add3_u32 v31, v18, v19, v82
	v_add3_u32 v30, v13, v30, v82
	ds_write2_b64 v78, v[86:87], v[88:89] offset1:30
	ds_write_b64 v78, v[9:10] offset:480
	ds_write2_b64 v31, v[84:85], v[92:93] offset1:30
	ds_write_b64 v31, v[14:15] offset:480
	ds_write2_b64 v30, v[16:17], v[90:91] offset1:30
	ds_write_b64 v30, v[11:12] offset:480
	s_and_saveexec_b32 s1, s0
	s_cbranch_execz .LBB0_27
; %bb.26:
	v_lshlrev_b32_sdwa v8, v8, v70 dst_sel:DWORD dst_unused:UNUSED_PAD src0_sel:DWORD src1_sel:BYTE_0
	v_add3_u32 v8, 0, v8, v82
	ds_write2_b64 v8, v[32:33], v[0:1] offset0:180 offset1:210
	ds_write_b64 v8, v[2:3] offset:1920
.LBB0_27:
	s_or_b32 exec_lo, exec_lo, s1
	s_waitcnt lgkmcnt(0)
	s_barrier
	buffer_gl0_inv
	ds_read2_b64 v[8:11], v78 offset0:90 offset1:117
	ds_read2_b64 v[16:19], v78 offset0:144 offset1:180
	;; [unrolled: 1-line block ×3, first 2 shown]
	ds_read_b64 v[40:41], v79
	ds_read_b64 v[36:37], v80
	;; [unrolled: 1-line block ×3, first 2 shown]
	s_and_saveexec_b32 s1, s0
	s_cbranch_execz .LBB0_29
; %bb.28:
	v_add3_u32 v0, 0, v83, v82
	v_add_nc_u32_e32 v1, 0x400, v78
	ds_read_b64 v[32:33], v0
	ds_read2_b64 v[0:3], v1 offset0:43 offset1:133
.LBB0_29:
	s_or_b32 exec_lo, exec_lo, s1
	v_add_f64 v[84:85], v[68:69], v[4:5]
	v_add_f64 v[90:91], v[28:29], v[26:27]
	;; [unrolled: 1-line block ×5, first 2 shown]
	v_add_f64 v[62:63], v[66:67], -v[62:63]
	v_add_f64 v[22:23], v[46:47], v[22:23]
	v_add_f64 v[24:25], v[44:45], v[24:25]
	v_add_f64 v[28:29], v[34:35], v[28:29]
	v_add_f64 v[50:51], v[50:51], -v[52:53]
	v_add_f64 v[52:53], v[54:55], -v[56:57]
	;; [unrolled: 1-line block ×3, first 2 shown]
	s_mov_b32 s4, 0xe8584caa
	s_mov_b32 s5, 0xbfebb67a
	;; [unrolled: 1-line block ×4, first 2 shown]
	s_waitcnt lgkmcnt(0)
	s_barrier
	buffer_gl0_inv
	v_fma_f64 v[48:49], v[84:85], -0.5, v[48:49]
	v_fma_f64 v[54:55], v[90:91], -0.5, v[34:35]
	;; [unrolled: 1-line block ×4, first 2 shown]
	v_add_f64 v[56:57], v[68:69], v[4:5]
	v_add_f64 v[20:21], v[22:23], v[20:21]
	;; [unrolled: 1-line block ×4, first 2 shown]
	v_fma_f64 v[24:25], v[62:63], s[4:5], v[48:49]
	v_fma_f64 v[4:5], v[52:53], s[4:5], v[54:55]
	;; [unrolled: 1-line block ×8, first 2 shown]
	ds_write2_b64 v78, v[56:57], v[24:25] offset1:30
	ds_write_b64 v78, v[26:27] offset:480
	ds_write2_b64 v31, v[20:21], v[28:29] offset1:30
	ds_write_b64 v31, v[46:47] offset:480
	;; [unrolled: 2-line block ×3, first 2 shown]
	s_and_saveexec_b32 s1, s0
	s_cbranch_execz .LBB0_31
; %bb.30:
	v_mov_b32_e32 v20, 3
	v_lshlrev_b32_sdwa v20, v20, v70 dst_sel:DWORD dst_unused:UNUSED_PAD src0_sel:DWORD src1_sel:BYTE_0
	v_add3_u32 v20, 0, v20, v82
	ds_write2_b64 v20, v[34:35], v[4:5] offset0:180 offset1:210
	ds_write_b64 v20, v[6:7] offset:1920
.LBB0_31:
	s_or_b32 exec_lo, exec_lo, s1
	s_waitcnt lgkmcnt(0)
	s_barrier
	buffer_gl0_inv
	ds_read2_b64 v[20:23], v78 offset0:90 offset1:117
	ds_read2_b64 v[28:31], v78 offset0:144 offset1:180
	;; [unrolled: 1-line block ×3, first 2 shown]
	ds_read_b64 v[50:51], v79
	ds_read_b64 v[46:47], v80
	ds_read_b64 v[48:49], v81
	s_and_saveexec_b32 s1, s0
	s_cbranch_execz .LBB0_33
; %bb.32:
	v_add3_u32 v4, 0, v83, v82
	v_add_nc_u32_e32 v5, 0x400, v78
	ds_read_b64 v[34:35], v4
	ds_read2_b64 v[4:7], v5 offset0:43 offset1:133
.LBB0_33:
	s_or_b32 exec_lo, exec_lo, s1
	s_and_saveexec_b32 s1, vcc_lo
	s_cbranch_execz .LBB0_36
; %bb.34:
	v_lshlrev_b32_e32 v44, 1, v77
	v_mov_b32_e32 v45, 0
	s_clause 0x1
	global_load_dwordx4 v[52:55], v[42:43], off offset:1296
	global_load_dwordx4 v[56:59], v[42:43], off offset:1280
	v_mad_u64_u32 v[70:71], null, s2, v72, 0
	v_add_nc_u32_e32 v95, 0x5a, v72
	v_lshlrev_b64 v[62:63], 4, v[44:45]
	v_lshlrev_b32_e32 v44, 1, v76
	v_add_nc_u32_e32 v96, 0xb4, v72
	v_add_nc_u32_e32 v97, 0x75, v72
	v_mad_u64_u32 v[84:85], null, s2, v95, 0
	v_lshlrev_b64 v[42:43], 4, v[44:45]
	v_add_co_u32 v66, vcc_lo, s8, v62
	v_add_co_ci_u32_e32 v67, vcc_lo, s9, v63, vcc_lo
	v_mad_u64_u32 v[86:87], null, s2, v96, 0
	v_add_co_u32 v42, vcc_lo, s8, v42
	v_add_co_ci_u32_e32 v43, vcc_lo, s9, v43, vcc_lo
	s_clause 0x3
	global_load_dwordx4 v[62:65], v[66:67], off offset:1280
	global_load_dwordx4 v[66:69], v[66:67], off offset:1296
	;; [unrolled: 1-line block ×4, first 2 shown]
	v_add_co_u32 v42, vcc_lo, s12, v60
	v_add_co_ci_u32_e32 v43, vcc_lo, s13, v61, vcc_lo
	v_mad_u64_u32 v[60:61], null, s2, v75, 0
	v_mad_u64_u32 v[88:89], null, s2, v97, 0
	v_lshrrev_b32_e32 v92, 1, v74
	v_mov_b32_e32 v44, v71
	v_add_nc_u32_e32 v98, 0xcf, v72
	v_mov_b32_e32 v71, v87
	s_mov_b32 s4, 0xe8584caa
	v_mul_hi_u32 v99, 0xb60b60b7, v92
	v_mad_u64_u32 v[92:93], null, s3, v72, v[44:45]
	v_mov_b32_e32 v44, v85
	v_mad_u64_u32 v[90:91], null, s2, v98, 0
	s_mov_b32 s5, 0x3febb67a
	s_mov_b32 s7, 0xbfebb67a
	v_lshrrev_b32_e32 v85, 5, v99
	s_mov_b32 s6, s4
	v_mad_u32_u24 v108, 0xb4, v85, v74
	v_add_nc_u32_e32 v109, 0x5a, v108
	v_add_nc_u32_e32 v110, 0xb4, v108
	s_waitcnt vmcnt(3)
	v_mad_u64_u32 v[93:94], null, s3, v75, v[61:62]
	v_mov_b32_e32 v61, v89
	v_mad_u64_u32 v[94:95], null, s3, v95, v[44:45]
	v_mad_u64_u32 v[95:96], null, s3, v96, v[71:72]
	;; [unrolled: 1-line block ×3, first 2 shown]
	v_mov_b32_e32 v75, v91
	v_mul_f64 v[100:101], v[16:17], v[64:65]
	s_waitcnt vmcnt(2)
	v_mul_f64 v[102:103], v[14:15], v[68:69]
	s_waitcnt vmcnt(1)
	;; [unrolled: 2-line block ×3, first 2 shown]
	v_mul_f64 v[106:107], v[12:13], v[82:83]
	v_mad_u64_u32 v[74:75], null, s3, v98, v[75:76]
	v_mov_b32_e32 v89, v96
	s_waitcnt lgkmcnt(5)
	v_mul_f64 v[96:97], v[20:21], v[58:59]
	s_waitcnt lgkmcnt(4)
	v_mul_f64 v[98:99], v[30:31], v[54:55]
	v_mul_f64 v[58:59], v[8:9], v[58:59]
	;; [unrolled: 1-line block ×4, first 2 shown]
	s_waitcnt lgkmcnt(3)
	v_mul_f64 v[82:83], v[24:25], v[82:83]
	v_mul_f64 v[64:65], v[28:29], v[64:65]
	;; [unrolled: 1-line block ×3, first 2 shown]
	v_mov_b32_e32 v71, v92
	v_mov_b32_e32 v61, v93
	v_mad_u64_u32 v[92:93], null, s2, v108, 0
	v_mov_b32_e32 v85, v94
	v_mov_b32_e32 v87, v95
	;; [unrolled: 1-line block ×3, first 2 shown]
	v_fma_f64 v[28:29], v[28:29], v[62:63], v[100:101]
	v_fma_f64 v[26:27], v[26:27], v[66:67], v[102:103]
	;; [unrolled: 1-line block ×3, first 2 shown]
	v_mov_b32_e32 v44, v93
	v_fma_f64 v[24:25], v[24:25], v[80:81], v[106:107]
	v_mad_u64_u32 v[74:75], null, s2, v109, 0
	v_fma_f64 v[8:9], v[8:9], v[56:57], -v[96:97]
	v_fma_f64 v[18:19], v[18:19], v[52:53], -v[98:99]
	v_fma_f64 v[20:21], v[20:21], v[56:57], v[58:59]
	v_fma_f64 v[30:31], v[30:31], v[52:53], v[54:55]
	v_mad_u64_u32 v[52:53], null, s3, v108, v[44:45]
	v_fma_f64 v[10:11], v[10:11], v[76:77], -v[78:79]
	v_fma_f64 v[53:54], v[12:13], v[80:81], -v[82:83]
	;; [unrolled: 1-line block ×4, first 2 shown]
	v_mad_u64_u32 v[94:95], null, s2, v110, 0
	v_mov_b32_e32 v14, v75
	v_lshlrev_b64 v[70:71], 4, v[70:71]
	v_lshlrev_b64 v[60:61], 4, v[60:61]
	;; [unrolled: 1-line block ×3, first 2 shown]
	v_add_f64 v[67:68], v[28:29], v[26:27]
	v_lshlrev_b64 v[86:87], 4, v[86:87]
	v_mov_b32_e32 v15, v95
	v_add_f64 v[76:77], v[22:23], v[24:25]
	v_add_co_u32 v70, vcc_lo, v42, v70
	v_add_co_ci_u32_e32 v71, vcc_lo, v43, v71, vcc_lo
	v_mad_u64_u32 v[62:63], null, s3, v109, v[14:15]
	v_add_f64 v[63:64], v[20:21], v[30:31]
	v_add_f64 v[65:66], v[8:9], v[18:19]
	v_add_co_u32 v60, vcc_lo, v42, v60
	v_add_f64 v[80:81], v[10:11], v[53:54]
	v_add_f64 v[82:83], v[16:17], v[12:13]
	v_add_co_ci_u32_e32 v61, vcc_lo, v43, v61, vcc_lo
	v_lshlrev_b64 v[88:89], 4, v[88:89]
	v_add_co_u32 v55, vcc_lo, v42, v84
	v_add_co_ci_u32_e32 v56, vcc_lo, v43, v85, vcc_lo
	v_add_co_u32 v57, vcc_lo, v42, v86
	v_add_co_ci_u32_e32 v58, vcc_lo, v43, v87, vcc_lo
	v_add_co_u32 v78, vcc_lo, v42, v88
	v_add_f64 v[84:85], v[8:9], -v[18:19]
	s_waitcnt lgkmcnt(2)
	v_add_f64 v[86:87], v[50:51], v[20:21]
	v_add_f64 v[8:9], v[40:41], v[8:9]
	v_add_co_ci_u32_e32 v79, vcc_lo, v43, v89, vcc_lo
	v_add_f64 v[88:89], v[20:21], -v[30:31]
	s_waitcnt lgkmcnt(0)
	v_add_f64 v[20:21], v[48:49], v[28:29]
	v_add_f64 v[98:99], v[46:47], v[22:23]
	v_fma_f64 v[50:51], v[63:64], -0.5, v[50:51]
	v_fma_f64 v[40:41], v[65:66], -0.5, v[40:41]
	v_mad_u64_u32 v[14:15], null, s3, v110, v[15:16]
	v_add_f64 v[96:97], v[16:17], -v[12:13]
	v_add_f64 v[16:17], v[38:39], v[16:17]
	v_add_f64 v[100:101], v[36:37], v[10:11]
	v_mov_b32_e32 v75, v62
	v_add_f64 v[62:63], v[10:11], -v[53:54]
	v_fma_f64 v[64:65], v[67:68], -0.5, v[48:49]
	v_fma_f64 v[46:47], v[76:77], -0.5, v[46:47]
	v_add_f64 v[66:67], v[22:23], -v[24:25]
	v_fma_f64 v[36:37], v[80:81], -0.5, v[36:37]
	v_add_f64 v[28:29], v[28:29], -v[26:27]
	v_fma_f64 v[68:69], v[82:83], -0.5, v[38:39]
	v_add_f64 v[10:11], v[86:87], v[30:31]
	v_add_f64 v[8:9], v[8:9], v[18:19]
	v_mov_b32_e32 v95, v14
	v_mov_b32_e32 v93, v52
	v_lshlrev_b64 v[90:91], 4, v[90:91]
	v_add_f64 v[14:15], v[20:21], v[26:27]
	v_add_f64 v[18:19], v[98:99], v[24:25]
	v_fma_f64 v[26:27], v[84:85], s[6:7], v[50:51]
	v_fma_f64 v[24:25], v[88:89], s[4:5], v[40:41]
	;; [unrolled: 1-line block ×4, first 2 shown]
	v_lshlrev_b64 v[80:81], 4, v[92:93]
	v_add_f64 v[12:13], v[16:17], v[12:13]
	v_add_f64 v[16:17], v[100:101], v[53:54]
	v_add_co_u32 v76, vcc_lo, v42, v90
	v_fma_f64 v[52:53], v[96:97], s[6:7], v[64:65]
	v_fma_f64 v[38:39], v[62:63], s[4:5], v[46:47]
	;; [unrolled: 1-line block ×8, first 2 shown]
	v_lshlrev_b64 v[74:75], 4, v[74:75]
	v_add_co_ci_u32_e32 v77, vcc_lo, v43, v91, vcc_lo
	v_lshlrev_b64 v[40:41], 4, v[94:95]
	v_add_co_u32 v62, vcc_lo, v42, v80
	v_add_co_ci_u32_e32 v63, vcc_lo, v43, v81, vcc_lo
	v_add_co_u32 v64, vcc_lo, v42, v74
	v_add_co_ci_u32_e32 v65, vcc_lo, v43, v75, vcc_lo
	;; [unrolled: 2-line block ×3, first 2 shown]
	global_store_dwordx4 v[70:71], v[8:11], off
	global_store_dwordx4 v[55:56], v[24:27], off
	;; [unrolled: 1-line block ×9, first 2 shown]
	s_and_b32 exec_lo, exec_lo, s0
	s_cbranch_execz .LBB0_36
; %bb.35:
	v_add_nc_u32_e32 v8, -9, v72
	v_add_nc_u32_e32 v26, 0xab, v72
	v_add_nc_u32_e32 v27, 0x105, v72
	v_add_nc_u32_e32 v24, 0x51, v72
	v_cndmask_b32_e64 v8, v8, v73, s0
	v_lshlrev_b32_e32 v44, 1, v8
	v_lshlrev_b64 v[8:9], 4, v[44:45]
	v_add_co_u32 v12, vcc_lo, s8, v8
	v_add_co_ci_u32_e32 v13, vcc_lo, s9, v9, vcc_lo
	s_clause 0x1
	global_load_dwordx4 v[8:11], v[12:13], off offset:1280
	global_load_dwordx4 v[12:15], v[12:13], off offset:1296
	s_waitcnt vmcnt(1)
	v_mul_f64 v[16:17], v[4:5], v[10:11]
	s_waitcnt vmcnt(0)
	v_mul_f64 v[18:19], v[6:7], v[14:15]
	v_mul_f64 v[10:11], v[0:1], v[10:11]
	;; [unrolled: 1-line block ×3, first 2 shown]
	v_fma_f64 v[0:1], v[0:1], v[8:9], -v[16:17]
	v_fma_f64 v[2:3], v[2:3], v[12:13], -v[18:19]
	v_fma_f64 v[4:5], v[4:5], v[8:9], v[10:11]
	v_fma_f64 v[6:7], v[6:7], v[12:13], v[14:15]
	v_mad_u64_u32 v[14:15], null, s2, v26, 0
	v_mad_u64_u32 v[16:17], null, s2, v27, 0
	;; [unrolled: 1-line block ×4, first 2 shown]
	v_add_f64 v[18:19], v[32:33], v[0:1]
	v_add_f64 v[8:9], v[0:1], v[2:3]
	v_add_f64 v[22:23], v[0:1], -v[2:3]
	v_add_f64 v[10:11], v[4:5], v[6:7]
	v_add_f64 v[20:21], v[4:5], -v[6:7]
	v_add_f64 v[4:5], v[34:35], v[4:5]
	v_mov_b32_e32 v0, v15
	v_mov_b32_e32 v1, v17
	v_mov_b32_e32 v13, v24
	v_mad_u64_u32 v[25:26], null, s3, v26, v[0:1]
	v_mad_u64_u32 v[0:1], null, s3, v27, v[1:2]
	v_lshlrev_b64 v[12:13], 4, v[12:13]
	v_mov_b32_e32 v15, v25
	v_mov_b32_e32 v17, v0
	v_fma_f64 v[8:9], v[8:9], -0.5, v[32:33]
	v_add_f64 v[0:1], v[18:19], v[2:3]
	v_fma_f64 v[10:11], v[10:11], -0.5, v[34:35]
	v_lshlrev_b64 v[14:15], 4, v[14:15]
	v_add_f64 v[2:3], v[4:5], v[6:7]
	v_lshlrev_b64 v[16:17], 4, v[16:17]
	v_add_co_u32 v12, vcc_lo, v42, v12
	v_add_co_ci_u32_e32 v13, vcc_lo, v43, v13, vcc_lo
	v_add_co_u32 v14, vcc_lo, v42, v14
	v_add_co_ci_u32_e32 v15, vcc_lo, v43, v15, vcc_lo
	;; [unrolled: 2-line block ×3, first 2 shown]
	v_fma_f64 v[4:5], v[20:21], s[4:5], v[8:9]
	v_fma_f64 v[8:9], v[20:21], s[6:7], v[8:9]
	;; [unrolled: 1-line block ×4, first 2 shown]
	global_store_dwordx4 v[12:13], v[0:3], off
	global_store_dwordx4 v[14:15], v[4:7], off
	;; [unrolled: 1-line block ×3, first 2 shown]
.LBB0_36:
	s_endpgm
	.section	.rodata,"a",@progbits
	.p2align	6, 0x0
	.amdhsa_kernel fft_rtc_fwd_len270_factors_10_3_3_3_wgs_108_tpt_27_halfLds_dp_ip_CI_sbrr_dirReg
		.amdhsa_group_segment_fixed_size 0
		.amdhsa_private_segment_fixed_size 0
		.amdhsa_kernarg_size 88
		.amdhsa_user_sgpr_count 6
		.amdhsa_user_sgpr_private_segment_buffer 1
		.amdhsa_user_sgpr_dispatch_ptr 0
		.amdhsa_user_sgpr_queue_ptr 0
		.amdhsa_user_sgpr_kernarg_segment_ptr 1
		.amdhsa_user_sgpr_dispatch_id 0
		.amdhsa_user_sgpr_flat_scratch_init 0
		.amdhsa_user_sgpr_private_segment_size 0
		.amdhsa_wavefront_size32 1
		.amdhsa_uses_dynamic_stack 0
		.amdhsa_system_sgpr_private_segment_wavefront_offset 0
		.amdhsa_system_sgpr_workgroup_id_x 1
		.amdhsa_system_sgpr_workgroup_id_y 0
		.amdhsa_system_sgpr_workgroup_id_z 0
		.amdhsa_system_sgpr_workgroup_info 0
		.amdhsa_system_vgpr_workitem_id 0
		.amdhsa_next_free_vgpr 123
		.amdhsa_next_free_sgpr 23
		.amdhsa_reserve_vcc 1
		.amdhsa_reserve_flat_scratch 0
		.amdhsa_float_round_mode_32 0
		.amdhsa_float_round_mode_16_64 0
		.amdhsa_float_denorm_mode_32 3
		.amdhsa_float_denorm_mode_16_64 3
		.amdhsa_dx10_clamp 1
		.amdhsa_ieee_mode 1
		.amdhsa_fp16_overflow 0
		.amdhsa_workgroup_processor_mode 1
		.amdhsa_memory_ordered 1
		.amdhsa_forward_progress 0
		.amdhsa_shared_vgpr_count 0
		.amdhsa_exception_fp_ieee_invalid_op 0
		.amdhsa_exception_fp_denorm_src 0
		.amdhsa_exception_fp_ieee_div_zero 0
		.amdhsa_exception_fp_ieee_overflow 0
		.amdhsa_exception_fp_ieee_underflow 0
		.amdhsa_exception_fp_ieee_inexact 0
		.amdhsa_exception_int_div_zero 0
	.end_amdhsa_kernel
	.text
.Lfunc_end0:
	.size	fft_rtc_fwd_len270_factors_10_3_3_3_wgs_108_tpt_27_halfLds_dp_ip_CI_sbrr_dirReg, .Lfunc_end0-fft_rtc_fwd_len270_factors_10_3_3_3_wgs_108_tpt_27_halfLds_dp_ip_CI_sbrr_dirReg
                                        ; -- End function
	.section	.AMDGPU.csdata,"",@progbits
; Kernel info:
; codeLenInByte = 8288
; NumSgprs: 25
; NumVgprs: 123
; ScratchSize: 0
; MemoryBound: 1
; FloatMode: 240
; IeeeMode: 1
; LDSByteSize: 0 bytes/workgroup (compile time only)
; SGPRBlocks: 3
; VGPRBlocks: 15
; NumSGPRsForWavesPerEU: 25
; NumVGPRsForWavesPerEU: 123
; Occupancy: 8
; WaveLimiterHint : 1
; COMPUTE_PGM_RSRC2:SCRATCH_EN: 0
; COMPUTE_PGM_RSRC2:USER_SGPR: 6
; COMPUTE_PGM_RSRC2:TRAP_HANDLER: 0
; COMPUTE_PGM_RSRC2:TGID_X_EN: 1
; COMPUTE_PGM_RSRC2:TGID_Y_EN: 0
; COMPUTE_PGM_RSRC2:TGID_Z_EN: 0
; COMPUTE_PGM_RSRC2:TIDIG_COMP_CNT: 0
	.text
	.p2alignl 6, 3214868480
	.fill 48, 4, 3214868480
	.type	__hip_cuid_67aac6444ca3bf62,@object ; @__hip_cuid_67aac6444ca3bf62
	.section	.bss,"aw",@nobits
	.globl	__hip_cuid_67aac6444ca3bf62
__hip_cuid_67aac6444ca3bf62:
	.byte	0                               ; 0x0
	.size	__hip_cuid_67aac6444ca3bf62, 1

	.ident	"AMD clang version 19.0.0git (https://github.com/RadeonOpenCompute/llvm-project roc-6.4.0 25133 c7fe45cf4b819c5991fe208aaa96edf142730f1d)"
	.section	".note.GNU-stack","",@progbits
	.addrsig
	.addrsig_sym __hip_cuid_67aac6444ca3bf62
	.amdgpu_metadata
---
amdhsa.kernels:
  - .args:
      - .actual_access:  read_only
        .address_space:  global
        .offset:         0
        .size:           8
        .value_kind:     global_buffer
      - .offset:         8
        .size:           8
        .value_kind:     by_value
      - .actual_access:  read_only
        .address_space:  global
        .offset:         16
        .size:           8
        .value_kind:     global_buffer
      - .actual_access:  read_only
        .address_space:  global
        .offset:         24
        .size:           8
        .value_kind:     global_buffer
      - .offset:         32
        .size:           8
        .value_kind:     by_value
      - .actual_access:  read_only
        .address_space:  global
        .offset:         40
        .size:           8
        .value_kind:     global_buffer
      - .actual_access:  read_only
        .address_space:  global
        .offset:         48
        .size:           8
        .value_kind:     global_buffer
      - .offset:         56
        .size:           4
        .value_kind:     by_value
      - .actual_access:  read_only
        .address_space:  global
        .offset:         64
        .size:           8
        .value_kind:     global_buffer
      - .actual_access:  read_only
        .address_space:  global
        .offset:         72
        .size:           8
        .value_kind:     global_buffer
      - .address_space:  global
        .offset:         80
        .size:           8
        .value_kind:     global_buffer
    .group_segment_fixed_size: 0
    .kernarg_segment_align: 8
    .kernarg_segment_size: 88
    .language:       OpenCL C
    .language_version:
      - 2
      - 0
    .max_flat_workgroup_size: 108
    .name:           fft_rtc_fwd_len270_factors_10_3_3_3_wgs_108_tpt_27_halfLds_dp_ip_CI_sbrr_dirReg
    .private_segment_fixed_size: 0
    .sgpr_count:     25
    .sgpr_spill_count: 0
    .symbol:         fft_rtc_fwd_len270_factors_10_3_3_3_wgs_108_tpt_27_halfLds_dp_ip_CI_sbrr_dirReg.kd
    .uniform_work_group_size: 1
    .uses_dynamic_stack: false
    .vgpr_count:     123
    .vgpr_spill_count: 0
    .wavefront_size: 32
    .workgroup_processor_mode: 1
amdhsa.target:   amdgcn-amd-amdhsa--gfx1030
amdhsa.version:
  - 1
  - 2
...

	.end_amdgpu_metadata
